;; amdgpu-corpus repo=ROCm/rocFFT kind=compiled arch=gfx1201 opt=O3
	.text
	.amdgcn_target "amdgcn-amd-amdhsa--gfx1201"
	.amdhsa_code_object_version 6
	.protected	fft_rtc_back_len1040_factors_13_16_5_wgs_208_tpt_208_halfLds_half_op_CI_CI_unitstride_sbrr_C2R_dirReg ; -- Begin function fft_rtc_back_len1040_factors_13_16_5_wgs_208_tpt_208_halfLds_half_op_CI_CI_unitstride_sbrr_C2R_dirReg
	.globl	fft_rtc_back_len1040_factors_13_16_5_wgs_208_tpt_208_halfLds_half_op_CI_CI_unitstride_sbrr_C2R_dirReg
	.p2align	8
	.type	fft_rtc_back_len1040_factors_13_16_5_wgs_208_tpt_208_halfLds_half_op_CI_CI_unitstride_sbrr_C2R_dirReg,@function
fft_rtc_back_len1040_factors_13_16_5_wgs_208_tpt_208_halfLds_half_op_CI_CI_unitstride_sbrr_C2R_dirReg: ; @fft_rtc_back_len1040_factors_13_16_5_wgs_208_tpt_208_halfLds_half_op_CI_CI_unitstride_sbrr_C2R_dirReg
; %bb.0:
	s_clause 0x2
	s_load_b128 s[8:11], s[0:1], 0x0
	s_load_b128 s[4:7], s[0:1], 0x58
	;; [unrolled: 1-line block ×3, first 2 shown]
	v_mul_u32_u24_e32 v1, 0x13c, v0
	v_mov_b32_e32 v8, 0
	v_mov_b32_e32 v6, 0
	;; [unrolled: 1-line block ×3, first 2 shown]
	s_delay_alu instid0(VALU_DEP_4) | instskip(NEXT) | instid1(VALU_DEP_1)
	v_lshrrev_b32_e32 v1, 16, v1
	v_dual_mov_b32 v11, v8 :: v_dual_add_nc_u32 v10, ttmp9, v1
	s_wait_kmcnt 0x0
	v_cmp_lt_u64_e64 s2, s[10:11], 2
	s_delay_alu instid0(VALU_DEP_1)
	s_and_b32 vcc_lo, exec_lo, s2
	s_cbranch_vccnz .LBB0_8
; %bb.1:
	s_load_b64 s[2:3], s[0:1], 0x10
	v_mov_b32_e32 v6, 0
	v_mov_b32_e32 v7, 0
	s_delay_alu instid0(VALU_DEP_2)
	v_mov_b32_e32 v1, v6
	s_add_nc_u64 s[16:17], s[14:15], 8
	s_add_nc_u64 s[18:19], s[12:13], 8
	s_mov_b64 s[20:21], 1
	v_mov_b32_e32 v2, v7
	s_wait_kmcnt 0x0
	s_add_nc_u64 s[22:23], s[2:3], 8
	s_mov_b32 s3, 0
.LBB0_2:                                ; =>This Inner Loop Header: Depth=1
	s_load_b64 s[24:25], s[22:23], 0x0
                                        ; implicit-def: $vgpr3_vgpr4
	s_mov_b32 s2, exec_lo
	s_wait_kmcnt 0x0
	v_or_b32_e32 v9, s25, v11
	s_delay_alu instid0(VALU_DEP_1)
	v_cmpx_ne_u64_e32 0, v[8:9]
	s_wait_alu 0xfffe
	s_xor_b32 s26, exec_lo, s2
	s_cbranch_execz .LBB0_4
; %bb.3:                                ;   in Loop: Header=BB0_2 Depth=1
	s_cvt_f32_u32 s2, s24
	s_cvt_f32_u32 s27, s25
	s_sub_nc_u64 s[30:31], 0, s[24:25]
	s_wait_alu 0xfffe
	s_delay_alu instid0(SALU_CYCLE_1) | instskip(SKIP_1) | instid1(SALU_CYCLE_2)
	s_fmamk_f32 s2, s27, 0x4f800000, s2
	s_wait_alu 0xfffe
	v_s_rcp_f32 s2, s2
	s_delay_alu instid0(TRANS32_DEP_1) | instskip(SKIP_1) | instid1(SALU_CYCLE_2)
	s_mul_f32 s2, s2, 0x5f7ffffc
	s_wait_alu 0xfffe
	s_mul_f32 s27, s2, 0x2f800000
	s_wait_alu 0xfffe
	s_delay_alu instid0(SALU_CYCLE_2) | instskip(SKIP_1) | instid1(SALU_CYCLE_2)
	s_trunc_f32 s27, s27
	s_wait_alu 0xfffe
	s_fmamk_f32 s2, s27, 0xcf800000, s2
	s_cvt_u32_f32 s29, s27
	s_wait_alu 0xfffe
	s_delay_alu instid0(SALU_CYCLE_1) | instskip(SKIP_1) | instid1(SALU_CYCLE_2)
	s_cvt_u32_f32 s28, s2
	s_wait_alu 0xfffe
	s_mul_u64 s[34:35], s[30:31], s[28:29]
	s_wait_alu 0xfffe
	s_mul_hi_u32 s37, s28, s35
	s_mul_i32 s36, s28, s35
	s_mul_hi_u32 s2, s28, s34
	s_mul_i32 s33, s29, s34
	s_wait_alu 0xfffe
	s_add_nc_u64 s[36:37], s[2:3], s[36:37]
	s_mul_hi_u32 s27, s29, s34
	s_mul_hi_u32 s38, s29, s35
	s_add_co_u32 s2, s36, s33
	s_wait_alu 0xfffe
	s_add_co_ci_u32 s2, s37, s27
	s_mul_i32 s34, s29, s35
	s_add_co_ci_u32 s35, s38, 0
	s_wait_alu 0xfffe
	s_add_nc_u64 s[34:35], s[2:3], s[34:35]
	s_wait_alu 0xfffe
	v_add_co_u32 v3, s2, s28, s34
	s_delay_alu instid0(VALU_DEP_1) | instskip(SKIP_1) | instid1(VALU_DEP_1)
	s_cmp_lg_u32 s2, 0
	s_add_co_ci_u32 s29, s29, s35
	v_readfirstlane_b32 s28, v3
	s_wait_alu 0xfffe
	s_delay_alu instid0(VALU_DEP_1)
	s_mul_u64 s[30:31], s[30:31], s[28:29]
	s_wait_alu 0xfffe
	s_mul_hi_u32 s35, s28, s31
	s_mul_i32 s34, s28, s31
	s_mul_hi_u32 s2, s28, s30
	s_mul_i32 s33, s29, s30
	s_wait_alu 0xfffe
	s_add_nc_u64 s[34:35], s[2:3], s[34:35]
	s_mul_hi_u32 s27, s29, s30
	s_mul_hi_u32 s28, s29, s31
	s_wait_alu 0xfffe
	s_add_co_u32 s2, s34, s33
	s_add_co_ci_u32 s2, s35, s27
	s_mul_i32 s30, s29, s31
	s_add_co_ci_u32 s31, s28, 0
	s_wait_alu 0xfffe
	s_add_nc_u64 s[30:31], s[2:3], s[30:31]
	s_wait_alu 0xfffe
	v_add_co_u32 v5, s2, v3, s30
	s_delay_alu instid0(VALU_DEP_1) | instskip(SKIP_1) | instid1(VALU_DEP_1)
	s_cmp_lg_u32 s2, 0
	s_add_co_ci_u32 s2, s29, s31
	v_mul_hi_u32 v9, v10, v5
	s_wait_alu 0xfffe
	v_mad_co_u64_u32 v[3:4], null, v10, s2, 0
	v_mad_co_u64_u32 v[12:13], null, v11, v5, 0
	;; [unrolled: 1-line block ×3, first 2 shown]
	s_delay_alu instid0(VALU_DEP_3) | instskip(SKIP_1) | instid1(VALU_DEP_4)
	v_add_co_u32 v3, vcc_lo, v9, v3
	s_wait_alu 0xfffd
	v_add_co_ci_u32_e32 v4, vcc_lo, 0, v4, vcc_lo
	s_delay_alu instid0(VALU_DEP_2) | instskip(SKIP_1) | instid1(VALU_DEP_2)
	v_add_co_u32 v3, vcc_lo, v3, v12
	s_wait_alu 0xfffd
	v_add_co_ci_u32_e32 v3, vcc_lo, v4, v13, vcc_lo
	s_wait_alu 0xfffd
	v_add_co_ci_u32_e32 v4, vcc_lo, 0, v15, vcc_lo
	s_delay_alu instid0(VALU_DEP_2) | instskip(SKIP_1) | instid1(VALU_DEP_2)
	v_add_co_u32 v5, vcc_lo, v3, v14
	s_wait_alu 0xfffd
	v_add_co_ci_u32_e32 v9, vcc_lo, 0, v4, vcc_lo
	s_delay_alu instid0(VALU_DEP_2) | instskip(SKIP_1) | instid1(VALU_DEP_3)
	v_mul_lo_u32 v12, s25, v5
	v_mad_co_u64_u32 v[3:4], null, s24, v5, 0
	v_mul_lo_u32 v13, s24, v9
	s_delay_alu instid0(VALU_DEP_2) | instskip(NEXT) | instid1(VALU_DEP_2)
	v_sub_co_u32 v3, vcc_lo, v10, v3
	v_add3_u32 v4, v4, v13, v12
	s_delay_alu instid0(VALU_DEP_1) | instskip(SKIP_1) | instid1(VALU_DEP_1)
	v_sub_nc_u32_e32 v12, v11, v4
	s_wait_alu 0xfffd
	v_subrev_co_ci_u32_e64 v12, s2, s25, v12, vcc_lo
	v_add_co_u32 v13, s2, v5, 2
	s_wait_alu 0xf1ff
	v_add_co_ci_u32_e64 v14, s2, 0, v9, s2
	v_sub_co_u32 v15, s2, v3, s24
	v_sub_co_ci_u32_e32 v4, vcc_lo, v11, v4, vcc_lo
	s_wait_alu 0xf1ff
	v_subrev_co_ci_u32_e64 v12, s2, 0, v12, s2
	s_delay_alu instid0(VALU_DEP_3) | instskip(NEXT) | instid1(VALU_DEP_3)
	v_cmp_le_u32_e32 vcc_lo, s24, v15
	v_cmp_eq_u32_e64 s2, s25, v4
	s_wait_alu 0xfffd
	v_cndmask_b32_e64 v15, 0, -1, vcc_lo
	v_cmp_le_u32_e32 vcc_lo, s25, v12
	s_wait_alu 0xfffd
	v_cndmask_b32_e64 v16, 0, -1, vcc_lo
	v_cmp_le_u32_e32 vcc_lo, s24, v3
	;; [unrolled: 3-line block ×3, first 2 shown]
	s_wait_alu 0xfffd
	v_cndmask_b32_e64 v17, 0, -1, vcc_lo
	v_cmp_eq_u32_e32 vcc_lo, s25, v12
	s_wait_alu 0xf1ff
	s_delay_alu instid0(VALU_DEP_2)
	v_cndmask_b32_e64 v3, v17, v3, s2
	s_wait_alu 0xfffd
	v_cndmask_b32_e32 v12, v16, v15, vcc_lo
	v_add_co_u32 v15, vcc_lo, v5, 1
	s_wait_alu 0xfffd
	v_add_co_ci_u32_e32 v16, vcc_lo, 0, v9, vcc_lo
	s_delay_alu instid0(VALU_DEP_3) | instskip(SKIP_2) | instid1(VALU_DEP_3)
	v_cmp_ne_u32_e32 vcc_lo, 0, v12
	s_wait_alu 0xfffd
	v_cndmask_b32_e32 v12, v15, v13, vcc_lo
	v_cndmask_b32_e32 v4, v16, v14, vcc_lo
	v_cmp_ne_u32_e32 vcc_lo, 0, v3
	s_wait_alu 0xfffd
	s_delay_alu instid0(VALU_DEP_3) | instskip(NEXT) | instid1(VALU_DEP_3)
	v_cndmask_b32_e32 v3, v5, v12, vcc_lo
	v_cndmask_b32_e32 v4, v9, v4, vcc_lo
.LBB0_4:                                ;   in Loop: Header=BB0_2 Depth=1
	s_wait_alu 0xfffe
	s_and_not1_saveexec_b32 s2, s26
	s_cbranch_execz .LBB0_6
; %bb.5:                                ;   in Loop: Header=BB0_2 Depth=1
	v_cvt_f32_u32_e32 v3, s24
	s_sub_co_i32 s26, 0, s24
	s_delay_alu instid0(VALU_DEP_1) | instskip(NEXT) | instid1(TRANS32_DEP_1)
	v_rcp_iflag_f32_e32 v3, v3
	v_mul_f32_e32 v3, 0x4f7ffffe, v3
	s_delay_alu instid0(VALU_DEP_1) | instskip(SKIP_1) | instid1(VALU_DEP_1)
	v_cvt_u32_f32_e32 v3, v3
	s_wait_alu 0xfffe
	v_mul_lo_u32 v4, s26, v3
	s_delay_alu instid0(VALU_DEP_1) | instskip(NEXT) | instid1(VALU_DEP_1)
	v_mul_hi_u32 v4, v3, v4
	v_add_nc_u32_e32 v3, v3, v4
	s_delay_alu instid0(VALU_DEP_1) | instskip(NEXT) | instid1(VALU_DEP_1)
	v_mul_hi_u32 v3, v10, v3
	v_mul_lo_u32 v4, v3, s24
	v_add_nc_u32_e32 v5, 1, v3
	s_delay_alu instid0(VALU_DEP_2) | instskip(NEXT) | instid1(VALU_DEP_1)
	v_sub_nc_u32_e32 v4, v10, v4
	v_subrev_nc_u32_e32 v9, s24, v4
	v_cmp_le_u32_e32 vcc_lo, s24, v4
	s_wait_alu 0xfffd
	s_delay_alu instid0(VALU_DEP_2) | instskip(SKIP_1) | instid1(VALU_DEP_2)
	v_cndmask_b32_e32 v4, v4, v9, vcc_lo
	v_cndmask_b32_e32 v3, v3, v5, vcc_lo
	v_cmp_le_u32_e32 vcc_lo, s24, v4
	s_delay_alu instid0(VALU_DEP_2) | instskip(SKIP_1) | instid1(VALU_DEP_1)
	v_dual_mov_b32 v4, v8 :: v_dual_add_nc_u32 v5, 1, v3
	s_wait_alu 0xfffd
	v_cndmask_b32_e32 v3, v3, v5, vcc_lo
.LBB0_6:                                ;   in Loop: Header=BB0_2 Depth=1
	s_wait_alu 0xfffe
	s_or_b32 exec_lo, exec_lo, s2
	v_mul_lo_u32 v5, v4, s24
	s_delay_alu instid0(VALU_DEP_2)
	v_mul_lo_u32 v9, v3, s25
	s_load_b64 s[26:27], s[18:19], 0x0
	v_mad_co_u64_u32 v[12:13], null, v3, s24, 0
	s_load_b64 s[24:25], s[16:17], 0x0
	s_add_nc_u64 s[20:21], s[20:21], 1
	s_add_nc_u64 s[16:17], s[16:17], 8
	s_wait_alu 0xfffe
	v_cmp_ge_u64_e64 s2, s[20:21], s[10:11]
	s_add_nc_u64 s[18:19], s[18:19], 8
	s_add_nc_u64 s[22:23], s[22:23], 8
	v_add3_u32 v5, v13, v9, v5
	v_sub_co_u32 v9, vcc_lo, v10, v12
	s_wait_alu 0xfffd
	s_delay_alu instid0(VALU_DEP_2) | instskip(SKIP_2) | instid1(VALU_DEP_1)
	v_sub_co_ci_u32_e32 v5, vcc_lo, v11, v5, vcc_lo
	s_and_b32 vcc_lo, exec_lo, s2
	s_wait_kmcnt 0x0
	v_mul_lo_u32 v10, s26, v5
	v_mul_lo_u32 v11, s27, v9
	v_mad_co_u64_u32 v[6:7], null, s26, v9, v[6:7]
	v_mul_lo_u32 v5, s24, v5
	v_mul_lo_u32 v12, s25, v9
	v_mad_co_u64_u32 v[1:2], null, s24, v9, v[1:2]
	s_delay_alu instid0(VALU_DEP_4) | instskip(NEXT) | instid1(VALU_DEP_2)
	v_add3_u32 v7, v11, v7, v10
	v_add3_u32 v2, v12, v2, v5
	s_wait_alu 0xfffe
	s_cbranch_vccnz .LBB0_9
; %bb.7:                                ;   in Loop: Header=BB0_2 Depth=1
	v_dual_mov_b32 v11, v4 :: v_dual_mov_b32 v10, v3
	s_branch .LBB0_2
.LBB0_8:
	v_dual_mov_b32 v1, v6 :: v_dual_mov_b32 v2, v7
	v_dual_mov_b32 v3, v10 :: v_dual_mov_b32 v4, v11
.LBB0_9:
	s_load_b64 s[0:1], s[0:1], 0x28
	v_mul_hi_u32 v8, 0x13b13b2, v0
	s_lshl_b64 s[10:11], s[10:11], 3
                                        ; implicit-def: $vgpr5
	s_wait_alu 0xfffe
	s_add_nc_u64 s[2:3], s[14:15], s[10:11]
	s_wait_kmcnt 0x0
	v_cmp_gt_u64_e32 vcc_lo, s[0:1], v[3:4]
	v_cmp_le_u64_e64 s0, s[0:1], v[3:4]
	s_delay_alu instid0(VALU_DEP_1)
	s_and_saveexec_b32 s1, s0
	s_wait_alu 0xfffe
	s_xor_b32 s0, exec_lo, s1
; %bb.10:
	v_mul_u32_u24_e32 v5, 0xd0, v8
                                        ; implicit-def: $vgpr8
                                        ; implicit-def: $vgpr6_vgpr7
	s_delay_alu instid0(VALU_DEP_1)
	v_sub_nc_u32_e32 v5, v0, v5
                                        ; implicit-def: $vgpr0
; %bb.11:
	s_wait_alu 0xfffe
	s_or_saveexec_b32 s1, s0
	s_load_b64 s[2:3], s[2:3], 0x0
	s_xor_b32 exec_lo, exec_lo, s1
	s_cbranch_execz .LBB0_15
; %bb.12:
	s_add_nc_u64 s[10:11], s[12:13], s[10:11]
	v_lshlrev_b64_e32 v[6:7], 2, v[6:7]
	s_load_b64 s[10:11], s[10:11], 0x0
	s_wait_kmcnt 0x0
	v_mul_lo_u32 v5, s11, v3
	v_mul_lo_u32 v11, s10, v4
	v_mad_co_u64_u32 v[9:10], null, s10, v3, 0
	s_delay_alu instid0(VALU_DEP_1) | instskip(SKIP_1) | instid1(VALU_DEP_2)
	v_add3_u32 v10, v10, v11, v5
	v_mul_u32_u24_e32 v5, 0xd0, v8
	v_lshlrev_b64_e32 v[8:9], 2, v[9:10]
	s_delay_alu instid0(VALU_DEP_2) | instskip(NEXT) | instid1(VALU_DEP_1)
	v_sub_nc_u32_e32 v5, v0, v5
	v_lshlrev_b32_e32 v10, 2, v5
	s_delay_alu instid0(VALU_DEP_3) | instskip(SKIP_1) | instid1(VALU_DEP_4)
	v_add_co_u32 v0, s0, s4, v8
	s_wait_alu 0xf1ff
	v_add_co_ci_u32_e64 v8, s0, s5, v9, s0
	s_mov_b32 s4, exec_lo
	s_delay_alu instid0(VALU_DEP_2) | instskip(SKIP_1) | instid1(VALU_DEP_2)
	v_add_co_u32 v6, s0, v0, v6
	s_wait_alu 0xf1ff
	v_add_co_ci_u32_e64 v7, s0, v8, v7, s0
	s_delay_alu instid0(VALU_DEP_2) | instskip(SKIP_1) | instid1(VALU_DEP_2)
	v_add_co_u32 v8, s0, v6, v10
	s_wait_alu 0xf1ff
	v_add_co_ci_u32_e64 v9, s0, 0, v7, s0
	s_clause 0x4
	global_load_b32 v0, v[8:9], off
	global_load_b32 v11, v[8:9], off offset:832
	global_load_b32 v12, v[8:9], off offset:1664
	;; [unrolled: 1-line block ×4, first 2 shown]
	v_add_nc_u32_e32 v9, 0, v10
	s_delay_alu instid0(VALU_DEP_1)
	v_add_nc_u32_e32 v10, 0x600, v9
	s_wait_loadcnt 0x3
	ds_store_2addr_b32 v9, v0, v11 offset1:208
	s_wait_loadcnt 0x1
	ds_store_2addr_b32 v10, v12, v13 offset0:32 offset1:240
	s_wait_loadcnt 0x0
	ds_store_b32 v9, v8 offset:3328
	v_cmpx_eq_u32_e32 0xcf, v5
	s_cbranch_execz .LBB0_14
; %bb.13:
	global_load_b32 v0, v[6:7], off offset:4160
	v_dual_mov_b32 v6, 0 :: v_dual_mov_b32 v5, 0xcf
	s_wait_loadcnt 0x0
	ds_store_b32 v6, v0 offset:4160
.LBB0_14:
	s_wait_alu 0xfffe
	s_or_b32 exec_lo, exec_lo, s4
.LBB0_15:
	s_delay_alu instid0(SALU_CYCLE_1)
	s_or_b32 exec_lo, exec_lo, s1
	v_lshlrev_b32_e32 v7, 2, v5
	global_wb scope:SCOPE_SE
	s_wait_dscnt 0x0
	s_wait_kmcnt 0x0
	s_barrier_signal -1
	s_barrier_wait -1
	global_inv scope:SCOPE_SE
	v_add_nc_u32_e32 v0, 0, v7
	v_sub_nc_u32_e32 v10, 0, v7
	s_mov_b32 s1, exec_lo
	ds_load_u16 v6, v0
	ds_load_u16 v8, v10 offset:4160
	s_wait_dscnt 0x0
	v_add_f16_e32 v12, v8, v6
	v_sub_f16_e32 v11, v6, v8
                                        ; implicit-def: $vgpr8_vgpr9
	v_cmpx_ne_u32_e32 0, v5
	s_wait_alu 0xfffe
	s_xor_b32 s1, exec_lo, s1
	s_cbranch_execz .LBB0_17
; %bb.16:
	v_mov_b32_e32 v6, 0
	s_delay_alu instid0(VALU_DEP_1) | instskip(NEXT) | instid1(VALU_DEP_1)
	v_lshlrev_b64_e32 v[8:9], 2, v[5:6]
	v_add_co_u32 v8, s0, s8, v8
	s_wait_alu 0xf1ff
	s_delay_alu instid0(VALU_DEP_2)
	v_add_co_ci_u32_e64 v9, s0, s9, v9, s0
	global_load_b32 v8, v[8:9], off offset:4108
	ds_load_u16 v9, v10 offset:4162
	ds_load_u16 v13, v0 offset:2
	s_wait_dscnt 0x0
	v_add_f16_e32 v14, v9, v13
	v_sub_f16_e32 v9, v13, v9
	s_wait_loadcnt 0x0
	v_lshrrev_b32_e32 v15, 16, v8
	s_delay_alu instid0(VALU_DEP_1) | instskip(NEXT) | instid1(VALU_DEP_3)
	v_fma_f16 v13, v11, v15, v12
	v_fma_f16 v16, v14, v15, v9
	v_fma_f16 v12, -v11, v15, v12
	v_fma_f16 v9, v14, v15, -v9
	s_delay_alu instid0(VALU_DEP_4) | instskip(NEXT) | instid1(VALU_DEP_4)
	v_fma_f16 v13, -v8, v14, v13
	v_fmac_f16_e32 v16, v11, v8
	s_delay_alu instid0(VALU_DEP_4) | instskip(NEXT) | instid1(VALU_DEP_4)
	v_fmac_f16_e32 v12, v8, v14
	v_fmac_f16_e32 v9, v11, v8
	s_delay_alu instid0(VALU_DEP_3) | instskip(NEXT) | instid1(VALU_DEP_2)
	v_pack_b32_f16 v11, v13, v16
	v_pack_b32_f16 v12, v12, v9
	v_dual_mov_b32 v9, v6 :: v_dual_mov_b32 v8, v5
	ds_store_b32 v0, v11
	ds_store_b32 v10, v12 offset:4160
                                        ; implicit-def: $vgpr12
                                        ; implicit-def: $vgpr11
.LBB0_17:
	s_wait_alu 0xfffe
	s_and_not1_saveexec_b32 s0, s1
	s_cbranch_execz .LBB0_19
; %bb.18:
	v_pack_b32_f16 v6, v12, v11
	v_dual_mov_b32 v11, 0 :: v_dual_mov_b32 v8, 0
	v_mov_b32_e32 v9, 0
	ds_store_b32 v0, v6
	ds_load_b32 v6, v11 offset:2080
	s_wait_dscnt 0x0
	v_pk_mul_f16 v6, 0xc0004000, v6
	ds_store_b32 v11, v6 offset:2080
.LBB0_19:
	s_wait_alu 0xfffe
	s_or_b32 exec_lo, exec_lo, s0
	v_lshlrev_b64_e32 v[8:9], 2, v[8:9]
	s_add_nc_u64 s[0:1], s[8:9], 0x100c
	s_wait_alu 0xfffe
	s_delay_alu instid0(VALU_DEP_1) | instskip(SKIP_1) | instid1(VALU_DEP_2)
	v_add_co_u32 v8, s0, s0, v8
	s_wait_alu 0xf1ff
	v_add_co_ci_u32_e64 v9, s0, s1, v9, s0
	s_mov_b32 s1, exec_lo
	global_load_b32 v6, v[8:9], off offset:832
	ds_load_b32 v11, v0 offset:832
	ds_load_b32 v12, v10 offset:3328
	s_wait_dscnt 0x1
	v_lshrrev_b32_e32 v13, 16, v11
	s_wait_dscnt 0x0
	v_lshrrev_b32_e32 v14, 16, v12
	v_add_f16_e32 v15, v11, v12
	v_sub_f16_e32 v11, v11, v12
	s_delay_alu instid0(VALU_DEP_3) | instskip(SKIP_3) | instid1(VALU_DEP_1)
	v_add_f16_e32 v12, v14, v13
	v_sub_f16_e32 v13, v13, v14
	s_wait_loadcnt 0x0
	v_lshrrev_b32_e32 v16, 16, v6
	v_fma_f16 v14, v11, v16, v15
	s_delay_alu instid0(VALU_DEP_3) | instskip(SKIP_2) | instid1(VALU_DEP_4)
	v_fma_f16 v17, v12, v16, v13
	v_fma_f16 v15, -v11, v16, v15
	v_fma_f16 v13, v12, v16, -v13
	v_fma_f16 v14, -v6, v12, v14
	s_delay_alu instid0(VALU_DEP_4) | instskip(NEXT) | instid1(VALU_DEP_4)
	v_fmac_f16_e32 v17, v11, v6
	v_fmac_f16_e32 v15, v6, v12
	s_delay_alu instid0(VALU_DEP_4) | instskip(NEXT) | instid1(VALU_DEP_3)
	v_fmac_f16_e32 v13, v11, v6
	v_pack_b32_f16 v6, v14, v17
	s_delay_alu instid0(VALU_DEP_2)
	v_pack_b32_f16 v11, v15, v13
	ds_store_b32 v0, v6 offset:832
	ds_store_b32 v10, v11 offset:3328
	v_cmpx_gt_u32_e32 0x68, v5
	s_cbranch_execz .LBB0_21
; %bb.20:
	global_load_b32 v6, v[8:9], off offset:1664
	ds_load_b32 v8, v0 offset:1664
	ds_load_b32 v9, v10 offset:2496
	s_wait_dscnt 0x1
	v_lshrrev_b32_e32 v11, 16, v8
	s_wait_dscnt 0x0
	v_lshrrev_b32_e32 v12, 16, v9
	v_add_f16_e32 v13, v8, v9
	v_sub_f16_e32 v8, v8, v9
	s_delay_alu instid0(VALU_DEP_3) | instskip(SKIP_3) | instid1(VALU_DEP_1)
	v_add_f16_e32 v9, v12, v11
	v_sub_f16_e32 v11, v11, v12
	s_wait_loadcnt 0x0
	v_lshrrev_b32_e32 v14, 16, v6
	v_fma_f16 v12, v8, v14, v13
	s_delay_alu instid0(VALU_DEP_3) | instskip(SKIP_2) | instid1(VALU_DEP_4)
	v_fma_f16 v15, v9, v14, v11
	v_fma_f16 v13, -v8, v14, v13
	v_fma_f16 v11, v9, v14, -v11
	v_fma_f16 v12, -v6, v9, v12
	s_delay_alu instid0(VALU_DEP_4) | instskip(NEXT) | instid1(VALU_DEP_4)
	v_fmac_f16_e32 v15, v8, v6
	v_fmac_f16_e32 v13, v6, v9
	s_delay_alu instid0(VALU_DEP_4) | instskip(NEXT) | instid1(VALU_DEP_3)
	v_fmac_f16_e32 v11, v8, v6
	v_pack_b32_f16 v6, v12, v15
	s_delay_alu instid0(VALU_DEP_2)
	v_pack_b32_f16 v8, v13, v11
	ds_store_b32 v0, v6 offset:1664
	ds_store_b32 v10, v8 offset:2496
.LBB0_21:
	s_wait_alu 0xfffe
	s_or_b32 exec_lo, exec_lo, s1
	global_wb scope:SCOPE_SE
	s_wait_dscnt 0x0
	s_barrier_signal -1
	s_barrier_wait -1
	global_inv scope:SCOPE_SE
	global_wb scope:SCOPE_SE
	s_barrier_signal -1
	s_barrier_wait -1
	global_inv scope:SCOPE_SE
	ds_load_2addr_b32 v[13:14], v0 offset1:80
	ds_load_b32 v6, v0 offset:3840
	v_add_nc_u32_e32 v10, 0xc00, v0
	ds_load_2addr_b32 v[8:9], v0 offset0:160 offset1:240
	ds_load_2addr_b32 v[10:11], v10 offset0:32 offset1:112
	v_add_nc_u32_e32 v12, 0x400, v0
	v_add_nc_u32_e32 v17, 0x600, v0
	s_mov_b32 s1, exec_lo
	ds_load_2addr_b32 v[15:16], v12 offset0:64 offset1:144
	v_add_nc_u32_e32 v12, 0x800, v0
	ds_load_2addr_b32 v[22:23], v17 offset0:96 offset1:176
	ds_load_2addr_b32 v[24:25], v12 offset0:128 offset1:208
	global_wb scope:SCOPE_SE
	s_wait_dscnt 0x0
	v_pk_add_f16 v19, v13, v14
	v_pk_add_f16 v20, v14, v6 neg_lo:[0,1] neg_hi:[0,1]
	v_pk_add_f16 v17, v6, v14
	v_lshrrev_b32_e32 v18, 16, v13
	s_barrier_signal -1
	v_pk_add_f16 v12, v19, v8
	v_pk_add_f16 v29, v11, v8
	v_pk_add_f16 v21, v8, v11 neg_lo:[0,1] neg_hi:[0,1]
	v_lshrrev_b32_e32 v14, 16, v20
	v_lshrrev_b32_e32 v19, 16, v17
	v_pk_add_f16 v8, v12, v9
	v_lshrrev_b32_e32 v42, 16, v29
	v_lshrrev_b32_e32 v34, 16, v21
	v_mul_f16_e32 v12, 0xb770, v14
	v_mul_f16_e32 v28, 0xba95, v14
	v_pk_add_f16 v8, v8, v15
	v_mul_f16_e32 v31, 0xbbf1, v14
	v_mul_f16_e32 v32, 0x2fb7, v19
	;; [unrolled: 1-line block ×4, first 2 shown]
	v_pk_add_f16 v8, v8, v16
	v_fmamk_f16 v35, v17, 0x3b15, v12
	v_fmamk_f16 v40, v20, 0x3bf1, v32
	;; [unrolled: 1-line block ×3, first 2 shown]
	v_mul_f16_e32 v30, 0x388b, v19
	v_pk_add_f16 v8, v8, v22
	v_fmamk_f16 v36, v20, 0x3770, v27
	v_fma_f16 v12, v17, 0x3b15, -v12
	v_fmac_f16_e32 v27, 0xb770, v20
	v_add_f16_e32 v35, v13, v35
	v_pk_add_f16 v8, v8, v23
	v_mul_f16_e32 v45, 0x388b, v42
	v_fmamk_f16 v38, v20, 0x3a95, v30
	v_add_f16_e32 v12, v13, v12
	v_add_f16_e32 v27, v18, v27
	v_pk_add_f16 v8, v8, v24
	v_mul_f16_e32 v48, 0xb5ac, v42
	v_fmamk_f16 v37, v17, 0x388b, v28
	v_fma_f16 v28, v17, 0x388b, -v28
	v_fmamk_f16 v39, v17, 0x2fb7, v31
	v_pk_add_f16 v8, v8, v25
	v_fma_f16 v31, v17, 0x2fb7, -v31
	v_add_f16_e32 v36, v18, v36
	v_add_f16_e32 v38, v18, v38
	v_mul_f16_e32 v46, 0xbb7b, v34
	v_pk_add_f16 v8, v8, v10
	v_fmac_f16_e32 v32, 0xbbf1, v20
	v_add_f16_e32 v28, v13, v28
	v_add_f16_e32 v39, v13, v39
	;; [unrolled: 1-line block ×3, first 2 shown]
	v_pk_add_f16 v8, v8, v11
	v_add_f16_e32 v11, v18, v40
	v_add_f16_e32 v40, v13, v41
	v_mul_f16_e32 v41, 0xba95, v34
	v_fmamk_f16 v47, v29, 0xb5ac, v46
	v_pk_mul_f16 v26, 0xb94ebb7b, v20
	v_mul_f16_e32 v19, 0xb9fd, v19
	v_fma_f16 v14, v17, 0xb5ac, -v14
	v_fmamk_f16 v44, v29, 0x388b, v41
	v_fma_f16 v41, v29, 0x388b, -v41
	v_add_f16_e32 v37, v13, v37
	v_add_f16_e32 v32, v18, v32
	v_pk_fma_f16 v33, 0xb5acb9fd, v17, v26 op_sel:[0,0,1] op_sel_hi:[1,1,0] neg_lo:[0,0,1] neg_hi:[0,0,1]
	v_add_f16_e32 v35, v44, v35
	v_fmamk_f16 v44, v21, 0x3a95, v45
	v_fmac_f16_e32 v45, 0xba95, v21
	v_add_f16_e32 v12, v41, v12
	v_fmamk_f16 v41, v21, 0x3b7b, v48
	v_fmac_f16_e32 v30, 0xba95, v20
	v_add_f16_e32 v36, v44, v36
	v_add_f16_e32 v27, v45, v27
	v_mul_f16_e32 v45, 0xb3a8, v34
	v_fma_f16 v44, v29, 0xb5ac, -v46
	v_mul_f16_e32 v46, 0xbbc4, v42
	v_add_f16_e32 v38, v41, v38
	v_mul_f16_e32 v34, 0x394e, v34
	v_fmamk_f16 v41, v29, 0xbbc4, v45
	v_fma_f16 v45, v29, 0xbbc4, -v45
	v_add_f16_e32 v28, v44, v28
	v_fmamk_f16 v44, v21, 0x33a8, v46
	v_fmac_f16_e32 v46, 0xb3a8, v21
	v_add_f16_e32 v39, v41, v39
	v_fmamk_f16 v41, v29, 0xb9fd, v34
	v_add_f16_e32 v31, v45, v31
	v_pk_add_f16 v45, v9, v10 neg_lo:[0,1] neg_hi:[0,1]
	v_pk_add_f16 v8, v8, v6
	v_pk_fma_f16 v26, 0xb5acb9fd, v17, v26 op_sel:[0,0,1] op_sel_hi:[1,1,0]
	v_add_f16_e32 v6, v13, v14
	v_fmamk_f16 v14, v20, 0x394e, v19
	v_fmac_f16_e32 v19, 0xb94e, v20
	v_add_f16_e32 v37, v47, v37
	v_add_f16_e32 v11, v44, v11
	;; [unrolled: 1-line block ×3, first 2 shown]
	v_pk_mul_f16 v44, 0x3bf1394e, v21
	v_add_f16_e32 v40, v41, v40
	v_fma_f16 v34, v29, 0xb9fd, -v34
	v_mul_f16_e32 v41, 0x2fb7, v42
	v_lshrrev_b32_e32 v46, 16, v45
	v_pk_add_f16 v47, v10, v9
	v_add_f16_e32 v30, v18, v30
	v_bfi_b32 v43, 0xffff, v33, v26
	v_add_f16_e32 v14, v18, v14
	v_add_f16_e32 v19, v18, v19
	v_fmac_f16_e32 v48, 0xbb7b, v21
	v_pk_fma_f16 v42, 0xb9fd2fb7, v29, v44 op_sel:[0,0,1] op_sel_hi:[1,1,0] neg_lo:[0,0,1] neg_hi:[0,0,1]
	v_pk_fma_f16 v44, 0xb9fd2fb7, v29, v44 op_sel:[0,0,1] op_sel_hi:[1,1,0]
	v_add_f16_e32 v6, v34, v6
	v_fmamk_f16 v9, v21, 0xbbf1, v41
	v_mul_f16_e32 v10, 0xbbf1, v46
	v_lshrrev_b32_e32 v34, 16, v47
	v_fmac_f16_e32 v41, 0x3bf1, v21
	v_pk_add_f16 v43, v13, v43
	v_add_f16_e32 v30, v48, v30
	v_bfi_b32 v48, 0xffff, v42, v44
	v_add_f16_e32 v9, v9, v14
	v_fmamk_f16 v14, v47, 0x2fb7, v10
	v_mul_f16_e32 v49, 0x2fb7, v34
	v_add_f16_e32 v19, v41, v19
	v_mul_f16_e32 v41, 0xb3a8, v46
	v_pk_add_f16 v43, v48, v43
	v_add_f16_e32 v14, v14, v35
	v_fmamk_f16 v35, v45, 0x3bf1, v49
	v_fma_f16 v10, v47, 0x2fb7, -v10
	v_fmac_f16_e32 v49, 0xbbf1, v45
	v_fmamk_f16 v48, v47, 0xbbc4, v41
	v_mul_f16_e32 v50, 0xbbc4, v34
	v_add_f16_e32 v35, v35, v36
	v_add_f16_e32 v10, v10, v12
	;; [unrolled: 1-line block ×4, first 2 shown]
	v_fmamk_f16 v36, v45, 0x33a8, v50
	v_fma_f16 v37, v47, 0xbbc4, -v41
	v_mul_f16_e32 v41, 0x3b7b, v46
	v_mul_f16_e32 v48, 0xb5ac, v34
	;; [unrolled: 1-line block ×3, first 2 shown]
	v_add_f16_e32 v36, v36, v38
	v_add_f16_e32 v28, v37, v28
	v_fmamk_f16 v37, v47, 0xb5ac, v41
	v_fmamk_f16 v38, v45, 0xbb7b, v48
	v_fma_f16 v41, v47, 0xb5ac, -v41
	v_fmac_f16_e32 v48, 0x3b7b, v45
	v_mul_f16_e32 v34, 0x388b, v34
	v_add_f16_e32 v37, v37, v39
	v_add_f16_e32 v11, v38, v11
	v_fmamk_f16 v38, v47, 0x3b15, v46
	v_add_f16_e32 v31, v41, v31
	v_pk_add_f16 v41, v15, v25 neg_lo:[0,1] neg_hi:[0,1]
	v_add_f16_e32 v32, v48, v32
	v_pk_mul_f16 v39, 0xba953770, v45
	v_add_f16_e32 v38, v38, v40
	v_fma_f16 v40, v47, 0x3b15, -v46
	v_lshrrev_b32_e32 v48, 16, v41
	v_pk_add_f16 v49, v25, v15
	v_fmac_f16_e32 v50, 0xb3a8, v45
	v_pk_fma_f16 v46, 0x3b15388b, v47, v39 op_sel:[0,0,1] op_sel_hi:[1,1,0] neg_lo:[0,0,1] neg_hi:[0,0,1]
	v_pk_fma_f16 v39, 0x3b15388b, v47, v39 op_sel:[0,0,1] op_sel_hi:[1,1,0]
	v_add_f16_e32 v6, v40, v6
	v_fmamk_f16 v15, v45, 0x3a95, v34
	v_mul_f16_e32 v25, 0xbb7b, v48
	v_lshrrev_b32_e32 v40, 16, v49
	v_fmac_f16_e32 v34, 0xba95, v45
	v_add_f16_e32 v30, v50, v30
	v_bfi_b32 v50, 0xffff, v46, v39
	v_add_f16_e32 v9, v15, v9
	v_fmamk_f16 v15, v49, 0xb5ac, v25
	v_mul_f16_e32 v51, 0xb5ac, v40
	v_add_f16_e32 v19, v34, v19
	v_mul_f16_e32 v34, 0x394e, v48
	v_pk_add_f16 v43, v50, v43
	v_add_f16_e32 v14, v15, v14
	v_fmamk_f16 v15, v41, 0x3b7b, v51
	v_fma_f16 v25, v49, 0xb5ac, -v25
	v_fmamk_f16 v50, v49, 0xb9fd, v34
	v_mul_f16_e32 v52, 0xb9fd, v40
	v_fma_f16 v34, v49, 0xb9fd, -v34
	v_add_f16_e32 v15, v15, v35
	v_add_f16_e32 v10, v25, v10
	v_add_f16_e32 v25, v50, v27
	v_fmamk_f16 v27, v41, 0xb94e, v52
	v_mul_f16_e32 v35, 0x3770, v48
	v_mul_f16_e32 v50, 0x3b15, v40
	v_add_f16_e32 v28, v34, v28
	v_mul_f16_e32 v48, 0xbbf1, v48
	v_add_f16_e32 v27, v27, v36
	v_fmamk_f16 v34, v49, 0x3b15, v35
	v_fmamk_f16 v36, v41, 0xb770, v50
	v_fmac_f16_e32 v51, 0xbb7b, v41
	v_fma_f16 v35, v49, 0x3b15, -v35
	v_fmac_f16_e32 v50, 0x3770, v41
	v_add_f16_e32 v34, v34, v37
	v_add_f16_e32 v11, v36, v11
	v_fmamk_f16 v36, v49, 0x2fb7, v48
	v_pk_add_f16 v37, v16, v24 neg_lo:[0,1] neg_hi:[0,1]
	v_add_f16_e32 v12, v51, v12
	v_add_f16_e32 v31, v35, v31
	;; [unrolled: 1-line block ×3, first 2 shown]
	v_pk_mul_f16 v35, 0x33a8bbf1, v41
	v_add_f16_e32 v36, v36, v38
	v_fma_f16 v38, v49, 0x2fb7, -v48
	v_mul_f16_e32 v40, 0xbbc4, v40
	v_lshrrev_b32_e32 v50, 16, v37
	v_pk_add_f16 v51, v24, v16
	v_fmac_f16_e32 v52, 0x394e, v41
	v_pk_fma_f16 v48, 0x2fb7bbc4, v49, v35 op_sel:[0,0,1] op_sel_hi:[1,1,0] neg_lo:[0,0,1] neg_hi:[0,0,1]
	v_pk_fma_f16 v16, 0x2fb7bbc4, v49, v35 op_sel:[0,0,1] op_sel_hi:[1,1,0]
	v_add_f16_e32 v6, v38, v6
	v_fmamk_f16 v24, v41, 0xb3a8, v40
	v_mul_f16_e32 v35, 0xb94e, v50
	v_lshrrev_b32_e32 v38, 16, v51
	v_fmac_f16_e32 v40, 0x33a8, v41
	v_add_f16_e32 v30, v52, v30
	v_bfi_b32 v52, 0xffff, v48, v16
	v_add_f16_e32 v9, v24, v9
	v_fmamk_f16 v24, v51, 0xb9fd, v35
	v_mul_f16_e32 v53, 0xb9fd, v38
	v_add_f16_e32 v19, v40, v19
	v_mul_f16_e32 v40, 0x3bf1, v50
	v_pk_add_f16 v43, v52, v43
	v_add_f16_e32 v14, v24, v14
	v_fmamk_f16 v24, v37, 0x394e, v53
	v_fma_f16 v35, v51, 0xb9fd, -v35
	v_fmac_f16_e32 v53, 0xb94e, v37
	v_fmamk_f16 v52, v51, 0x2fb7, v40
	v_mul_f16_e32 v54, 0x2fb7, v38
	v_add_f16_e32 v15, v24, v15
	v_add_f16_e32 v10, v35, v10
	;; [unrolled: 1-line block ×4, first 2 shown]
	v_fmamk_f16 v12, v37, 0xbbf1, v54
	v_fma_f16 v25, v51, 0x2fb7, -v40
	v_mul_f16_e32 v40, 0xba95, v50
	v_mul_f16_e32 v52, 0x388b, v38
	;; [unrolled: 1-line block ×3, first 2 shown]
	v_add_f16_e32 v27, v12, v27
	v_add_f16_e32 v28, v25, v28
	v_fmamk_f16 v12, v51, 0x388b, v40
	v_fmamk_f16 v25, v37, 0x3a95, v52
	v_fma_f16 v40, v51, 0x388b, -v40
	v_fmac_f16_e32 v54, 0x3bf1, v37
	v_fmac_f16_e32 v52, 0xba95, v37
	v_add_f16_e32 v34, v12, v34
	v_add_f16_e32 v53, v25, v11
	v_fmamk_f16 v11, v51, 0xbbc4, v50
	v_add_f16_e32 v31, v40, v31
	v_pk_add_f16 v40, v22, v23 neg_lo:[0,1] neg_hi:[0,1]
	v_mul_f16_e32 v25, 0x3b15, v38
	v_pk_mul_f16 v12, 0x377033a8, v37
	v_add_f16_e32 v36, v11, v36
	v_fma_f16 v11, v51, 0xbbc4, -v50
	v_lshrrev_b32_e32 v38, 16, v40
	v_pk_add_f16 v22, v23, v22
	v_add_f16_e32 v30, v54, v30
	v_add_f16_e32 v32, v52, v32
	;; [unrolled: 1-line block ×3, first 2 shown]
	v_mul_f16_e32 v6, 0xb3a8, v38
	v_pk_fma_f16 v50, 0xbbc43b15, v51, v12 op_sel:[0,0,1] op_sel_hi:[1,1,0] neg_lo:[0,0,1] neg_hi:[0,0,1]
	v_pk_fma_f16 v52, 0xbbc43b15, v51, v12 op_sel:[0,0,1] op_sel_hi:[1,1,0]
	v_fmamk_f16 v11, v37, 0xb770, v25
	v_lshrrev_b32_e32 v54, 16, v22
	v_fmamk_f16 v55, v22, 0xbbc4, v6
	v_fmac_f16_e32 v25, 0x3770, v37
	v_bfi_b32 v12, 0xffff, v50, v52
	v_add_f16_e32 v56, v11, v9
	v_mul_f16_e32 v11, 0xbbc4, v54
	v_add_f16_e32 v9, v55, v14
	v_mul_f16_e32 v14, 0x3770, v38
	v_pk_add_f16 v43, v12, v43
	v_add_f16_e32 v57, v25, v19
	v_mul_f16_e32 v19, 0x3b15, v54
	v_fmamk_f16 v12, v40, 0x33a8, v11
	v_fma_f16 v6, v22, 0xbbc4, -v6
	v_fmac_f16_e32 v11, 0xb3a8, v40
	v_fmamk_f16 v55, v22, 0x3b15, v14
	v_fmamk_f16 v58, v40, 0xb770, v19
	v_add_f16_e32 v25, v12, v15
	v_add_f16_e32 v12, v6, v10
	;; [unrolled: 1-line block ×4, first 2 shown]
	v_mul_f16_e32 v35, 0xb94e, v38
	v_bfi_b32 v11, 0xffff, v26, v33
	v_add_f16_e32 v6, v58, v27
	v_fma_f16 v14, v22, 0x3b15, -v14
	v_fmac_f16_e32 v19, 0x3770, v40
	v_fmamk_f16 v26, v22, 0xb9fd, v35
	v_pk_add_f16 v58, v13, v11
	v_bfi_b32 v42, 0xffff, v44, v42
	v_mul_f16_e32 v55, 0xb9fd, v54
	v_add_f16_e32 v15, v14, v28
	v_add_f16_e32 v27, v19, v30
	;; [unrolled: 1-line block ×3, first 2 shown]
	v_pk_add_f16 v14, v42, v58
	v_bfi_b32 v19, 0xffff, v39, v46
	v_fma_f16 v26, v22, 0xb9fd, -v35
	v_mul_f16_e32 v30, 0x3a95, v38
	v_fmamk_f16 v33, v40, 0x394e, v55
	v_bfi_b32 v16, 0xffff, v16, v48
	v_pk_add_f16 v19, v19, v14
	v_add_f16_e32 v14, v26, v31
	v_fmamk_f16 v31, v22, 0x388b, v30
	v_add_f16_e32 v28, v33, v53
	v_fmac_f16_e32 v55, 0xb94e, v40
	v_pk_mul_f16 v33, 0xbb7b3a95, v40
	v_pk_add_f16 v19, v16, v19
	v_bfi_b32 v34, 0xffff, v52, v50
	v_fma_f16 v30, v22, 0x388b, -v30
	v_add_f16_e32 v16, v31, v36
	v_pk_mul_f16 v31, 0xbbc4, v17 op_sel_hi:[0,1]
	v_add_f16_e32 v26, v55, v32
	v_pk_fma_f16 v32, 0x388bb5ac, v22, v33 op_sel:[0,0,1] op_sel_hi:[1,1,0] neg_lo:[0,0,1] neg_hi:[0,0,1]
	v_pk_fma_f16 v33, 0x388bb5ac, v22, v33 op_sel:[0,0,1] op_sel_hi:[1,1,0]
	v_pk_add_f16 v17, v34, v19
	v_add_f16_e32 v19, v30, v23
	v_pk_fma_f16 v30, 0xb3a8, v20, v31 op_sel:[0,0,1] op_sel_hi:[0,1,0] neg_lo:[0,1,0] neg_hi:[0,1,0]
	v_pk_mul_f16 v29, 0x3b15, v29 op_sel_hi:[0,1]
	v_pk_fma_f16 v20, 0xb3a8, v20, v31 op_sel:[0,0,1] op_sel_hi:[0,1,0]
	v_bfi_b32 v34, 0xffff, v33, v32
	v_bfi_b32 v23, 0xffff, v32, v33
	v_mul_f16_e32 v32, 0xb5ac, v54
	v_pk_add_f16 v30, v13, v30 op_sel:[1,0] op_sel_hi:[0,1]
	v_pk_fma_f16 v31, 0x3770, v21, v29 op_sel:[0,0,1] op_sel_hi:[0,1,0] neg_lo:[0,1,0] neg_hi:[0,1,0]
	v_pk_mul_f16 v33, 0xb9fd, v47 op_sel_hi:[0,1]
	v_lshrrev_b32_e32 v35, 16, v20
	v_pk_fma_f16 v21, 0x3770, v21, v29 op_sel:[0,0,1] op_sel_hi:[0,1,0]
	v_pk_add_f16 v17, v34, v17
	v_fmamk_f16 v34, v40, 0x3b7b, v32
	v_pk_add_f16 v30, v31, v30
	v_pk_fma_f16 v31, 0xb94e, v45, v33 op_sel:[0,0,1] op_sel_hi:[0,1,0] neg_lo:[0,1,0] neg_hi:[0,1,0]
	v_pk_mul_f16 v36, 0x388b, v49 op_sel_hi:[0,1]
	v_add_f16_e32 v13, v13, v35
	v_lshrrev_b32_e32 v35, 16, v21
	v_pk_fma_f16 v33, 0xb94e, v45, v33 op_sel:[0,0,1] op_sel_hi:[0,1,0]
	v_add_f16_e32 v18, v18, v20
	v_add_f16_e32 v29, v34, v56
	v_pk_add_f16 v30, v31, v30
	v_pk_fma_f16 v31, 0x3a95, v41, v36 op_sel:[0,0,1] op_sel_hi:[0,1,0] neg_lo:[0,1,0] neg_hi:[0,1,0]
	v_add_f16_e32 v13, v35, v13
	v_lshrrev_b32_e32 v34, 16, v33
	v_pk_fma_f16 v20, 0x3a95, v41, v36 op_sel:[0,0,1] op_sel_hi:[0,1,0]
	v_pk_mul_f16 v35, 0xb5ac, v51 op_sel_hi:[0,1]
	v_add_f16_e32 v18, v21, v18
	v_pk_add_f16 v30, v31, v30
	v_add_f16_e32 v13, v34, v13
	v_lshrrev_b32_e32 v21, 16, v20
	v_pk_fma_f16 v31, 0xbb7b, v37, v35 op_sel:[0,0,1] op_sel_hi:[0,1,0]
	v_pk_mul_f16 v22, 0x2fb7, v22 op_sel_hi:[0,1]
	v_add_f16_e32 v18, v33, v18
	v_pk_fma_f16 v34, 0xbb7b, v37, v35 op_sel:[0,0,1] op_sel_hi:[0,1,0] neg_lo:[0,1,0] neg_hi:[0,1,0]
	v_add_f16_e32 v13, v21, v13
	v_lshrrev_b32_e32 v21, 16, v31
	v_pk_fma_f16 v33, 0x3bf1, v40, v22 op_sel:[0,0,1] op_sel_hi:[0,1,0]
	v_add_f16_e32 v18, v20, v18
	v_fmac_f16_e32 v32, 0xbb7b, v40
	v_pk_add_f16 v34, v34, v30
	v_add_f16_e32 v13, v21, v13
	v_lshrrev_b32_e32 v20, 16, v33
	v_pk_fma_f16 v21, 0x3bf1, v40, v22 op_sel:[0,0,1] op_sel_hi:[0,1,0] neg_lo:[0,1,0] neg_hi:[0,1,0]
	v_add_f16_e32 v22, v31, v18
	v_pk_add_f16 v18, v23, v43
	v_add_f16_e32 v30, v32, v57
	v_add_f16_e32 v20, v20, v13
	v_pk_add_f16 v31, v21, v34
	v_add_f16_e32 v32, v33, v22
	s_barrier_wait -1
	global_inv scope:SCOPE_SE
	v_cmpx_gt_u32_e32 0x50, v5
	s_cbranch_execz .LBB0_23
; %bb.22:
	v_mad_u32_u24 v13, v5, 48, v0
	v_perm_b32 v21, v25, v9, 0x5040100
	v_perm_b32 v22, v28, v11, 0x5040100
	;; [unrolled: 1-line block ×3, first 2 shown]
	v_bfi_b32 v33, 0xffff, v16, v17
	v_perm_b32 v34, v29, v17, 0x5040100
	v_perm_b32 v35, v31, v20, 0x5040100
	v_alignbit_b32 v36, v32, v31, 16
	v_bfi_b32 v37, 0xffff, v19, v18
	v_perm_b32 v38, v30, v18, 0x5040100
	v_perm_b32 v39, v27, v15, 0x5040100
	;; [unrolled: 1-line block ×4, first 2 shown]
	ds_store_2addr_b32 v13, v8, v21 offset1:1
	ds_store_2addr_b32 v13, v23, v22 offset0:2 offset1:3
	ds_store_2addr_b32 v13, v33, v34 offset0:4 offset1:5
	ds_store_2addr_b32 v13, v35, v36 offset0:6 offset1:7
	ds_store_2addr_b32 v13, v38, v37 offset0:8 offset1:9
	ds_store_2addr_b32 v13, v40, v39 offset0:10 offset1:11
	ds_store_b32 v13, v41 offset:48
.LBB0_23:
	s_wait_alu 0xfffe
	s_or_b32 exec_lo, exec_lo, s1
	v_cmp_gt_u32_e64 s0, 0x41, v5
	v_lshrrev_b32_e32 v34, 16, v17
	v_lshrrev_b32_e32 v21, 16, v31
	global_wb scope:SCOPE_SE
	s_wait_dscnt 0x0
	s_barrier_signal -1
	s_barrier_wait -1
	global_inv scope:SCOPE_SE
                                        ; implicit-def: $vgpr33
                                        ; implicit-def: $vgpr35
                                        ; implicit-def: $vgpr22
                                        ; implicit-def: $vgpr36
	s_and_saveexec_b32 s1, s0
	s_cbranch_execz .LBB0_25
; %bb.24:
	v_add_nc_u32_e32 v6, 0x800, v0
	v_add_nc_u32_e32 v16, 0xc00, v0
	ds_load_2addr_b32 v[8:9], v0 offset1:65
	ds_load_2addr_b32 v[10:11], v0 offset0:130 offset1:195
	ds_load_2addr_b32 v[18:19], v6 offset0:8 offset1:73
	ds_load_2addr_b32 v[14:15], v6 offset0:138 offset1:203
	v_add_nc_u32_e32 v6, 0x400, v0
	ds_load_2addr_b32 v[12:13], v16 offset0:12 offset1:77
	ds_load_2addr_b32 v[22:23], v16 offset0:142 offset1:207
	;; [unrolled: 1-line block ×4, first 2 shown]
	s_wait_dscnt 0x7
	v_lshrrev_b32_e32 v25, 16, v9
	s_wait_dscnt 0x6
	v_lshrrev_b32_e32 v6, 16, v10
	v_lshrrev_b32_e32 v28, 16, v11
	s_wait_dscnt 0x5
	v_lshrrev_b32_e32 v30, 16, v18
	s_wait_dscnt 0x4
	v_lshrrev_b32_e32 v26, 16, v14
	v_lshrrev_b32_e32 v27, 16, v15
	s_wait_dscnt 0x3
	v_lshrrev_b32_e32 v24, 16, v12
	;; [unrolled: 3-line block ×5, first 2 shown]
	v_lshrrev_b32_e32 v32, 16, v21
	v_bfi_b32 v18, 0xffff, v18, v19
.LBB0_25:
	s_wait_alu 0xfffe
	s_or_b32 exec_lo, exec_lo, s1
	global_wb scope:SCOPE_SE
	s_barrier_signal -1
	s_barrier_wait -1
	global_inv scope:SCOPE_SE
	s_and_saveexec_b32 s1, s0
	s_cbranch_execz .LBB0_27
; %bb.26:
	v_and_b32_e32 v37, 0xff, v5
	v_lshrrev_b32_e32 v54, 16, v8
	s_delay_alu instid0(VALU_DEP_2) | instskip(NEXT) | instid1(VALU_DEP_1)
	v_mul_lo_u16 v37, 0x4f, v37
	v_lshrrev_b16 v52, 10, v37
	s_delay_alu instid0(VALU_DEP_1) | instskip(SKIP_1) | instid1(VALU_DEP_2)
	v_mul_lo_u16 v37, v52, 13
	v_and_b32_e32 v52, 0xffff, v52
	v_sub_nc_u16 v37, v5, v37
	s_delay_alu instid0(VALU_DEP_2) | instskip(NEXT) | instid1(VALU_DEP_2)
	v_mul_u32_u24_e32 v52, 0xd0, v52
	v_and_b32_e32 v53, 0xff, v37
	s_delay_alu instid0(VALU_DEP_1) | instskip(NEXT) | instid1(VALU_DEP_3)
	v_mul_u32_u24_e32 v37, 15, v53
	v_or_b32_e32 v52, v52, v53
	v_lshrrev_b32_e32 v53, 16, v18
	s_delay_alu instid0(VALU_DEP_3) | instskip(NEXT) | instid1(VALU_DEP_3)
	v_lshlrev_b32_e32 v49, 2, v37
	v_lshl_add_u32 v52, v52, 2, 0
	s_clause 0x3
	global_load_b128 v[37:40], v49, s[8:9]
	global_load_b128 v[41:44], v49, s[8:9] offset:16
	global_load_b128 v[45:48], v49, s[8:9] offset:32
	global_load_b96 v[49:51], v49, s[8:9] offset:48
	s_wait_loadcnt 0x3
	v_lshrrev_b32_e32 v55, 16, v37
	v_lshrrev_b32_e32 v56, 16, v38
	v_lshrrev_b32_e32 v57, 16, v39
	v_lshrrev_b32_e32 v58, 16, v40
	s_wait_loadcnt 0x2
	v_lshrrev_b32_e32 v59, 16, v41
	v_lshrrev_b32_e32 v60, 16, v42
	v_lshrrev_b32_e32 v61, 16, v43
	v_lshrrev_b32_e32 v62, 16, v44
	;; [unrolled: 5-line block ×3, first 2 shown]
	s_wait_loadcnt 0x0
	v_lshrrev_b32_e32 v67, 16, v49
	v_lshrrev_b32_e32 v68, 16, v50
	;; [unrolled: 1-line block ×3, first 2 shown]
	v_mul_f16_e32 v70, v9, v55
	v_mul_f16_e32 v71, v19, v63
	;; [unrolled: 1-line block ×30, first 2 shown]
	v_fma_f16 v25, v25, v37, -v70
	v_fma_f16 v53, v53, v45, -v71
	v_fmac_f16_e32 v72, v17, v41
	v_fmac_f16_e32 v73, v13, v49
	v_fma_f16 v13, v28, v39, -v74
	v_fma_f16 v17, v27, v47, -v75
	v_fmac_f16_e32 v76, v21, v43
	v_fmac_f16_e32 v77, v23, v51
	;; [unrolled: 1-line block ×4, first 2 shown]
	v_fma_f16 v11, v32, v43, -v61
	v_fma_f16 v15, v36, v51, -v69
	v_fmac_f16_e32 v78, v18, v44
	v_fma_f16 v18, v34, v40, -v79
	v_fma_f16 v21, v24, v48, -v80
	;; [unrolled: 1-line block ×4, first 2 shown]
	v_fmac_f16_e32 v83, v20, v42
	v_fmac_f16_e32 v84, v22, v50
	;; [unrolled: 1-line block ×4, first 2 shown]
	v_fma_f16 v10, v31, v42, -v60
	v_fma_f16 v14, v35, v50, -v68
	v_fmac_f16_e32 v55, v9, v37
	v_fmac_f16_e32 v63, v19, v45
	v_fma_f16 v9, v29, v41, -v59
	v_fma_f16 v19, v33, v49, -v67
	;; [unrolled: 1-line block ×3, first 2 shown]
	v_fmac_f16_e32 v58, v16, v40
	v_fmac_f16_e32 v66, v12, v48
	v_sub_f16_e32 v12, v25, v53
	v_sub_f16_e32 v16, v72, v73
	;; [unrolled: 1-line block ×18, first 2 shown]
	v_add_f16_e32 v33, v24, v15
	v_add_f16_e32 v34, v26, v21
	v_sub_f16_e32 v35, v23, v27
	v_add_f16_e32 v36, v28, v14
	v_add_f16_e32 v37, v29, v19
	v_sub_f16_e32 v38, v20, v30
	v_fma_f16 v25, v25, 2.0, -v12
	v_fma_f16 v9, v9, 2.0, -v19
	;; [unrolled: 1-line block ×16, first 2 shown]
	v_fmamk_f16 v39, v32, 0x39a8, v31
	v_fmamk_f16 v40, v36, 0x39a8, v34
	;; [unrolled: 1-line block ×4, first 2 shown]
	v_fma_f16 v12, v12, 2.0, -v31
	v_fma_f16 v17, v17, 2.0, -v32
	;; [unrolled: 1-line block ×8, first 2 shown]
	v_sub_f16_e32 v9, v25, v9
	v_sub_f16_e32 v22, v19, v22
	;; [unrolled: 1-line block ×8, first 2 shown]
	v_fmac_f16_e32 v39, 0xb9a8, v33
	v_fmac_f16_e32 v40, 0x39a8, v35
	;; [unrolled: 1-line block ×4, first 2 shown]
	v_fmamk_f16 v32, v17, 0xb9a8, v12
	v_fmamk_f16 v33, v28, 0xb9a8, v26
	;; [unrolled: 1-line block ×4, first 2 shown]
	v_sub_f16_e32 v43, v9, v22
	v_add_f16_e32 v44, v30, v10
	v_add_f16_e32 v45, v16, v11
	v_sub_f16_e32 v46, v18, v27
	v_fma_f16 v8, v8, 2.0, -v30
	v_fma_f16 v21, v21, 2.0, -v27
	;; [unrolled: 1-line block ×8, first 2 shown]
	v_fmac_f16_e32 v32, 0xb9a8, v24
	v_fmac_f16_e32 v33, 0x39a8, v23
	v_fmac_f16_e32 v35, 0x39a8, v17
	v_fmac_f16_e32 v36, 0xb9a8, v28
	v_fmamk_f16 v17, v41, 0x3b64, v40
	v_fmamk_f16 v23, v39, 0x3b64, v42
	v_fmamk_f16 v24, v45, 0x39a8, v44
	v_fma_f16 v9, v9, 2.0, -v43
	v_fma_f16 v30, v30, 2.0, -v44
	;; [unrolled: 1-line block ×4, first 2 shown]
	v_sub_f16_e32 v21, v8, v21
	v_sub_f16_e32 v11, v25, v11
	v_fma_f16 v15, v31, 2.0, -v39
	v_fma_f16 v19, v34, 2.0, -v40
	;; [unrolled: 1-line block ×4, first 2 shown]
	v_sub_f16_e32 v6, v13, v6
	v_sub_f16_e32 v14, v10, v14
	v_fmamk_f16 v28, v43, 0x39a8, v46
	v_fmac_f16_e32 v17, 0x361f, v39
	v_fmac_f16_e32 v23, 0xb61f, v41
	;; [unrolled: 1-line block ×3, first 2 shown]
	v_fmamk_f16 v39, v16, 0xb9a8, v30
	v_fmamk_f16 v41, v9, 0xb9a8, v18
	v_add_f16_e32 v43, v21, v11
	v_fma_f16 v26, v26, 2.0, -v33
	v_fma_f16 v12, v12, 2.0, -v32
	;; [unrolled: 1-line block ×4, first 2 shown]
	v_fmamk_f16 v31, v22, 0xb61f, v19
	v_fmamk_f16 v34, v15, 0xb61f, v27
	v_fma_f16 v8, v8, 2.0, -v21
	v_fma_f16 v10, v10, 2.0, -v14
	v_fma_f16 v13, v13, 2.0, -v6
	v_fma_f16 v11, v25, 2.0, -v11
	v_fmamk_f16 v37, v35, 0x361f, v33
	v_fmamk_f16 v38, v32, 0x361f, v36
	v_fmac_f16_e32 v28, 0xb9a8, v45
	v_sub_f16_e32 v45, v6, v14
	v_fmac_f16_e32 v39, 0x39a8, v9
	v_fmac_f16_e32 v41, 0xb9a8, v16
	v_fma_f16 v9, v21, 2.0, -v43
	v_fmamk_f16 v16, v29, 0xbb64, v26
	v_fmamk_f16 v21, v12, 0xbb64, v20
	v_fmac_f16_e32 v31, 0x3b64, v15
	v_fmac_f16_e32 v34, 0xbb64, v22
	v_sub_f16_e32 v10, v8, v10
	v_sub_f16_e32 v11, v13, v11
	v_fmac_f16_e32 v37, 0x3b64, v32
	v_fmac_f16_e32 v38, 0xbb64, v35
	v_fma_f16 v14, v40, 2.0, -v17
	v_fma_f16 v15, v42, 2.0, -v23
	;; [unrolled: 1-line block ×5, first 2 shown]
	v_fmac_f16_e32 v16, 0x361f, v12
	v_fmac_f16_e32 v21, 0xb61f, v29
	v_fma_f16 v19, v19, 2.0, -v31
	v_fma_f16 v27, v27, 2.0, -v34
	;; [unrolled: 1-line block ×6, first 2 shown]
	v_pack_b32_f16 v24, v24, v28
	v_pack_b32_f16 v17, v17, v23
	v_fma_f16 v23, v33, 2.0, -v37
	v_fma_f16 v28, v36, 2.0, -v38
	v_pack_b32_f16 v6, v9, v6
	v_pack_b32_f16 v9, v22, v25
	;; [unrolled: 1-line block ×6, first 2 shown]
	v_fma_f16 v22, v26, 2.0, -v16
	v_fma_f16 v20, v20, 2.0, -v21
	v_pack_b32_f16 v32, v43, v45
	v_pack_b32_f16 v15, v37, v38
	;; [unrolled: 1-line block ×6, first 2 shown]
	ds_store_2addr_b32 v52, v9, v13 offset0:78 offset1:91
	v_pack_b32_f16 v9, v16, v21
	ds_store_2addr_b32 v52, v11, v14 offset0:130 offset1:143
	v_pack_b32_f16 v11, v22, v20
	ds_store_2addr_b32 v52, v32, v15 offset0:156 offset1:169
	ds_store_2addr_b32 v52, v12, v18 offset0:26 offset1:39
	;; [unrolled: 1-line block ×4, first 2 shown]
	ds_store_2addr_b32 v52, v8, v11 offset1:13
	ds_store_2addr_b32 v52, v24, v17 offset0:182 offset1:195
.LBB0_27:
	s_wait_alu 0xfffe
	s_or_b32 exec_lo, exec_lo, s1
	v_dual_mov_b32 v8, 0 :: v_dual_add_nc_u32 v15, 0x600, v0
	global_wb scope:SCOPE_SE
	s_wait_dscnt 0x0
	s_barrier_signal -1
	s_barrier_wait -1
	v_lshlrev_b64_e32 v[6:7], 2, v[7:8]
	global_inv scope:SCOPE_SE
	v_add_co_u32 v6, s0, s8, v6
	s_wait_alu 0xf1ff
	v_add_co_ci_u32_e64 v7, s0, s9, v7, s0
	global_load_b128 v[9:12], v[6:7], off offset:780
	ds_load_2addr_b32 v[6:7], v0 offset1:208
	ds_load_b32 v16, v0 offset:3328
	ds_load_2addr_b32 v[13:14], v15 offset0:32 offset1:240
	ds_load_u16 v17, v0 offset:2
	global_wb scope:SCOPE_SE
	s_wait_loadcnt_dscnt 0x0
	s_barrier_signal -1
	s_barrier_wait -1
	global_inv scope:SCOPE_SE
	v_lshrrev_b32_e32 v18, 16, v7
	v_lshrrev_b32_e32 v19, 16, v16
	;; [unrolled: 1-line block ×8, first 2 shown]
	s_delay_alu instid0(VALU_DEP_4)
	v_mul_f16_e32 v26, v21, v18
	v_mul_f16_e32 v21, v21, v7
	;; [unrolled: 1-line block ×8, first 2 shown]
	v_fmac_f16_e32 v26, v9, v7
	v_fma_f16 v7, v9, v18, -v21
	v_fmac_f16_e32 v27, v10, v13
	v_fma_f16 v9, v10, v20, -v23
	;; [unrolled: 2-line block ×4, first 2 shown]
	v_add_f16_e32 v23, v17, v7
	v_add_f16_e32 v13, v27, v28
	;; [unrolled: 1-line block ×6, first 2 shown]
	v_sub_f16_e32 v14, v7, v10
	v_sub_f16_e32 v16, v9, v11
	;; [unrolled: 1-line block ×9, first 2 shown]
	v_fma_f16 v13, -0.5, v13, v6
	v_fmac_f16_e32 v6, -0.5, v20
	v_add_f16_e32 v9, v23, v9
	v_fma_f16 v20, -0.5, v24, v17
	v_sub_f16_e32 v26, v27, v28
	v_fmac_f16_e32 v17, -0.5, v32
	v_sub_f16_e32 v31, v10, v11
	v_sub_f16_e32 v33, v11, v10
	v_add_f16_e32 v12, v12, v27
	v_add_f16_e32 v18, v18, v19
	;; [unrolled: 1-line block ×3, first 2 shown]
	v_fmamk_f16 v22, v14, 0xbb9c, v13
	v_add_f16_e32 v9, v9, v11
	v_fmamk_f16 v11, v25, 0x3b9c, v20
	v_fmamk_f16 v23, v16, 0x3b9c, v6
	v_fmac_f16_e32 v6, 0xbb9c, v16
	v_fmamk_f16 v24, v26, 0xbb9c, v17
	v_fmac_f16_e32 v17, 0x3b9c, v26
	v_fmac_f16_e32 v13, 0x3b9c, v14
	;; [unrolled: 1-line block ×3, first 2 shown]
	v_add_f16_e32 v21, v30, v31
	v_add_f16_e32 v12, v12, v28
	v_fmac_f16_e32 v22, 0xb8b4, v16
	v_fmac_f16_e32 v11, 0x38b4, v26
	v_add_f16_e32 v7, v7, v33
	v_fmac_f16_e32 v23, 0xb8b4, v14
	v_fmac_f16_e32 v6, 0x38b4, v14
	;; [unrolled: 1-line block ×6, first 2 shown]
	v_add_f16_e32 v12, v12, v29
	v_add_f16_e32 v9, v9, v10
	v_fmac_f16_e32 v22, 0x34f2, v18
	v_fmac_f16_e32 v11, 0x34f2, v21
	v_fmac_f16_e32 v23, 0x34f2, v19
	v_fmac_f16_e32 v6, 0x34f2, v19
	v_fmac_f16_e32 v24, 0x34f2, v7
	v_fmac_f16_e32 v17, 0x34f2, v7
	v_fmac_f16_e32 v13, 0x34f2, v18
	v_fmac_f16_e32 v20, 0x34f2, v21
	v_pack_b32_f16 v7, v12, v9
	v_pack_b32_f16 v9, v22, v11
	;; [unrolled: 1-line block ×5, first 2 shown]
	ds_store_2addr_b32 v0, v7, v9 offset1:208
	ds_store_2addr_b32 v15, v10, v6 offset0:32 offset1:240
	ds_store_b32 v0, v11 offset:3328
	global_wb scope:SCOPE_SE
	s_wait_dscnt 0x0
	s_barrier_signal -1
	s_barrier_wait -1
	global_inv scope:SCOPE_SE
	s_and_saveexec_b32 s0, vcc_lo
	s_cbranch_execz .LBB0_29
; %bb.28:
	v_mul_lo_u32 v0, s3, v3
	v_mul_lo_u32 v7, s2, v4
	v_mad_co_u64_u32 v[3:4], null, s2, v3, 0
	v_mov_b32_e32 v6, v8
	v_lshl_add_u32 v17, v5, 2, 0
	s_delay_alu instid0(VALU_DEP_1) | instskip(NEXT) | instid1(VALU_DEP_4)
	v_add_nc_u32_e32 v15, 0x600, v17
	v_add3_u32 v4, v4, v7, v0
	v_add_nc_u32_e32 v7, 0xd0, v5
	v_lshlrev_b64_e32 v[0:1], 2, v[1:2]
	v_lshlrev_b64_e32 v[11:12], 2, v[5:6]
	ds_load_2addr_b32 v[9:10], v17 offset1:208
	v_lshlrev_b64_e32 v[2:3], 2, v[3:4]
	v_lshlrev_b64_e32 v[13:14], 2, v[7:8]
	v_add_nc_u32_e32 v7, 0x1a0, v5
	ds_load_2addr_b32 v[15:16], v15 offset0:32 offset1:240
	ds_load_b32 v17, v17 offset:3328
	v_add_co_u32 v4, vcc_lo, s6, v2
	s_wait_alu 0xfffd
	v_add_co_ci_u32_e32 v6, vcc_lo, s7, v3, vcc_lo
	v_lshlrev_b64_e32 v[2:3], 2, v[7:8]
	s_delay_alu instid0(VALU_DEP_3) | instskip(SKIP_1) | instid1(VALU_DEP_3)
	v_add_co_u32 v18, vcc_lo, v4, v0
	s_wait_alu 0xfffd
	v_add_co_ci_u32_e32 v19, vcc_lo, v6, v1, vcc_lo
	v_add_nc_u32_e32 v7, 0x270, v5
	s_delay_alu instid0(VALU_DEP_3) | instskip(SKIP_1) | instid1(VALU_DEP_3)
	v_add_co_u32 v0, vcc_lo, v18, v11
	s_wait_alu 0xfffd
	v_add_co_ci_u32_e32 v1, vcc_lo, v19, v12, vcc_lo
	v_add_co_u32 v11, vcc_lo, v18, v13
	s_wait_alu 0xfffd
	v_add_co_ci_u32_e32 v12, vcc_lo, v19, v14, vcc_lo
	v_lshlrev_b64_e32 v[13:14], 2, v[7:8]
	v_add_nc_u32_e32 v7, 0x340, v5
	v_add_co_u32 v2, vcc_lo, v18, v2
	s_wait_alu 0xfffd
	v_add_co_ci_u32_e32 v3, vcc_lo, v19, v3, vcc_lo
	s_delay_alu instid0(VALU_DEP_3) | instskip(SKIP_3) | instid1(VALU_DEP_3)
	v_lshlrev_b64_e32 v[4:5], 2, v[7:8]
	v_add_co_u32 v6, vcc_lo, v18, v13
	s_wait_alu 0xfffd
	v_add_co_ci_u32_e32 v7, vcc_lo, v19, v14, vcc_lo
	v_add_co_u32 v4, vcc_lo, v18, v4
	s_wait_alu 0xfffd
	v_add_co_ci_u32_e32 v5, vcc_lo, v19, v5, vcc_lo
	s_wait_dscnt 0x2
	s_clause 0x1
	global_store_b32 v[0:1], v9, off
	global_store_b32 v[11:12], v10, off
	s_wait_dscnt 0x1
	s_clause 0x1
	global_store_b32 v[2:3], v15, off
	global_store_b32 v[6:7], v16, off
	s_wait_dscnt 0x0
	global_store_b32 v[4:5], v17, off
.LBB0_29:
	s_nop 0
	s_sendmsg sendmsg(MSG_DEALLOC_VGPRS)
	s_endpgm
	.section	.rodata,"a",@progbits
	.p2align	6, 0x0
	.amdhsa_kernel fft_rtc_back_len1040_factors_13_16_5_wgs_208_tpt_208_halfLds_half_op_CI_CI_unitstride_sbrr_C2R_dirReg
		.amdhsa_group_segment_fixed_size 0
		.amdhsa_private_segment_fixed_size 0
		.amdhsa_kernarg_size 104
		.amdhsa_user_sgpr_count 2
		.amdhsa_user_sgpr_dispatch_ptr 0
		.amdhsa_user_sgpr_queue_ptr 0
		.amdhsa_user_sgpr_kernarg_segment_ptr 1
		.amdhsa_user_sgpr_dispatch_id 0
		.amdhsa_user_sgpr_private_segment_size 0
		.amdhsa_wavefront_size32 1
		.amdhsa_uses_dynamic_stack 0
		.amdhsa_enable_private_segment 0
		.amdhsa_system_sgpr_workgroup_id_x 1
		.amdhsa_system_sgpr_workgroup_id_y 0
		.amdhsa_system_sgpr_workgroup_id_z 0
		.amdhsa_system_sgpr_workgroup_info 0
		.amdhsa_system_vgpr_workitem_id 0
		.amdhsa_next_free_vgpr 85
		.amdhsa_next_free_sgpr 39
		.amdhsa_reserve_vcc 1
		.amdhsa_float_round_mode_32 0
		.amdhsa_float_round_mode_16_64 0
		.amdhsa_float_denorm_mode_32 3
		.amdhsa_float_denorm_mode_16_64 3
		.amdhsa_fp16_overflow 0
		.amdhsa_workgroup_processor_mode 1
		.amdhsa_memory_ordered 1
		.amdhsa_forward_progress 0
		.amdhsa_round_robin_scheduling 0
		.amdhsa_exception_fp_ieee_invalid_op 0
		.amdhsa_exception_fp_denorm_src 0
		.amdhsa_exception_fp_ieee_div_zero 0
		.amdhsa_exception_fp_ieee_overflow 0
		.amdhsa_exception_fp_ieee_underflow 0
		.amdhsa_exception_fp_ieee_inexact 0
		.amdhsa_exception_int_div_zero 0
	.end_amdhsa_kernel
	.text
.Lfunc_end0:
	.size	fft_rtc_back_len1040_factors_13_16_5_wgs_208_tpt_208_halfLds_half_op_CI_CI_unitstride_sbrr_C2R_dirReg, .Lfunc_end0-fft_rtc_back_len1040_factors_13_16_5_wgs_208_tpt_208_halfLds_half_op_CI_CI_unitstride_sbrr_C2R_dirReg
                                        ; -- End function
	.section	.AMDGPU.csdata,"",@progbits
; Kernel info:
; codeLenInByte = 8652
; NumSgprs: 41
; NumVgprs: 85
; ScratchSize: 0
; MemoryBound: 0
; FloatMode: 240
; IeeeMode: 1
; LDSByteSize: 0 bytes/workgroup (compile time only)
; SGPRBlocks: 5
; VGPRBlocks: 10
; NumSGPRsForWavesPerEU: 41
; NumVGPRsForWavesPerEU: 85
; Occupancy: 16
; WaveLimiterHint : 1
; COMPUTE_PGM_RSRC2:SCRATCH_EN: 0
; COMPUTE_PGM_RSRC2:USER_SGPR: 2
; COMPUTE_PGM_RSRC2:TRAP_HANDLER: 0
; COMPUTE_PGM_RSRC2:TGID_X_EN: 1
; COMPUTE_PGM_RSRC2:TGID_Y_EN: 0
; COMPUTE_PGM_RSRC2:TGID_Z_EN: 0
; COMPUTE_PGM_RSRC2:TIDIG_COMP_CNT: 0
	.text
	.p2alignl 7, 3214868480
	.fill 96, 4, 3214868480
	.type	__hip_cuid_708603417ea34bb3,@object ; @__hip_cuid_708603417ea34bb3
	.section	.bss,"aw",@nobits
	.globl	__hip_cuid_708603417ea34bb3
__hip_cuid_708603417ea34bb3:
	.byte	0                               ; 0x0
	.size	__hip_cuid_708603417ea34bb3, 1

	.ident	"AMD clang version 19.0.0git (https://github.com/RadeonOpenCompute/llvm-project roc-6.4.0 25133 c7fe45cf4b819c5991fe208aaa96edf142730f1d)"
	.section	".note.GNU-stack","",@progbits
	.addrsig
	.addrsig_sym __hip_cuid_708603417ea34bb3
	.amdgpu_metadata
---
amdhsa.kernels:
  - .args:
      - .actual_access:  read_only
        .address_space:  global
        .offset:         0
        .size:           8
        .value_kind:     global_buffer
      - .offset:         8
        .size:           8
        .value_kind:     by_value
      - .actual_access:  read_only
        .address_space:  global
        .offset:         16
        .size:           8
        .value_kind:     global_buffer
      - .actual_access:  read_only
        .address_space:  global
        .offset:         24
        .size:           8
        .value_kind:     global_buffer
      - .actual_access:  read_only
        .address_space:  global
        .offset:         32
        .size:           8
        .value_kind:     global_buffer
      - .offset:         40
        .size:           8
        .value_kind:     by_value
      - .actual_access:  read_only
        .address_space:  global
        .offset:         48
        .size:           8
        .value_kind:     global_buffer
      - .actual_access:  read_only
        .address_space:  global
        .offset:         56
        .size:           8
        .value_kind:     global_buffer
      - .offset:         64
        .size:           4
        .value_kind:     by_value
      - .actual_access:  read_only
        .address_space:  global
        .offset:         72
        .size:           8
        .value_kind:     global_buffer
      - .actual_access:  read_only
        .address_space:  global
        .offset:         80
        .size:           8
        .value_kind:     global_buffer
      - .actual_access:  read_only
        .address_space:  global
        .offset:         88
        .size:           8
        .value_kind:     global_buffer
      - .actual_access:  write_only
        .address_space:  global
        .offset:         96
        .size:           8
        .value_kind:     global_buffer
    .group_segment_fixed_size: 0
    .kernarg_segment_align: 8
    .kernarg_segment_size: 104
    .language:       OpenCL C
    .language_version:
      - 2
      - 0
    .max_flat_workgroup_size: 208
    .name:           fft_rtc_back_len1040_factors_13_16_5_wgs_208_tpt_208_halfLds_half_op_CI_CI_unitstride_sbrr_C2R_dirReg
    .private_segment_fixed_size: 0
    .sgpr_count:     41
    .sgpr_spill_count: 0
    .symbol:         fft_rtc_back_len1040_factors_13_16_5_wgs_208_tpt_208_halfLds_half_op_CI_CI_unitstride_sbrr_C2R_dirReg.kd
    .uniform_work_group_size: 1
    .uses_dynamic_stack: false
    .vgpr_count:     85
    .vgpr_spill_count: 0
    .wavefront_size: 32
    .workgroup_processor_mode: 1
amdhsa.target:   amdgcn-amd-amdhsa--gfx1201
amdhsa.version:
  - 1
  - 2
...

	.end_amdgpu_metadata
